;; amdgpu-corpus repo=ROCm/rocFFT kind=compiled arch=gfx1030 opt=O3
	.text
	.amdgcn_target "amdgcn-amd-amdhsa--gfx1030"
	.amdhsa_code_object_version 6
	.protected	fft_rtc_fwd_len864_factors_3_6_16_3_wgs_54_tpt_54_halfLds_sp_op_CI_CI_unitstride_sbrr_R2C_dirReg ; -- Begin function fft_rtc_fwd_len864_factors_3_6_16_3_wgs_54_tpt_54_halfLds_sp_op_CI_CI_unitstride_sbrr_R2C_dirReg
	.globl	fft_rtc_fwd_len864_factors_3_6_16_3_wgs_54_tpt_54_halfLds_sp_op_CI_CI_unitstride_sbrr_R2C_dirReg
	.p2align	8
	.type	fft_rtc_fwd_len864_factors_3_6_16_3_wgs_54_tpt_54_halfLds_sp_op_CI_CI_unitstride_sbrr_R2C_dirReg,@function
fft_rtc_fwd_len864_factors_3_6_16_3_wgs_54_tpt_54_halfLds_sp_op_CI_CI_unitstride_sbrr_R2C_dirReg: ; @fft_rtc_fwd_len864_factors_3_6_16_3_wgs_54_tpt_54_halfLds_sp_op_CI_CI_unitstride_sbrr_R2C_dirReg
; %bb.0:
	s_clause 0x2
	s_load_dwordx4 s[12:15], s[4:5], 0x0
	s_load_dwordx4 s[8:11], s[4:5], 0x58
	;; [unrolled: 1-line block ×3, first 2 shown]
	v_mul_u32_u24_e32 v1, 0x4be, v0
	v_mov_b32_e32 v3, 0
	v_add_nc_u32_sdwa v5, s6, v1 dst_sel:DWORD dst_unused:UNUSED_PAD src0_sel:DWORD src1_sel:WORD_1
	v_mov_b32_e32 v1, 0
	v_mov_b32_e32 v6, v3
	v_mov_b32_e32 v2, 0
	s_waitcnt lgkmcnt(0)
	v_cmp_lt_u64_e64 s0, s[14:15], 2
	s_and_b32 vcc_lo, exec_lo, s0
	s_cbranch_vccnz .LBB0_8
; %bb.1:
	s_load_dwordx2 s[0:1], s[4:5], 0x10
	v_mov_b32_e32 v1, 0
	v_mov_b32_e32 v2, 0
	s_add_u32 s2, s18, 8
	s_addc_u32 s3, s19, 0
	s_add_u32 s6, s16, 8
	s_addc_u32 s7, s17, 0
	v_mov_b32_e32 v33, v2
	v_mov_b32_e32 v32, v1
	s_mov_b64 s[22:23], 1
	s_waitcnt lgkmcnt(0)
	s_add_u32 s20, s0, 8
	s_addc_u32 s21, s1, 0
.LBB0_2:                                ; =>This Inner Loop Header: Depth=1
	s_load_dwordx2 s[24:25], s[20:21], 0x0
                                        ; implicit-def: $vgpr38_vgpr39
	s_mov_b32 s0, exec_lo
	s_waitcnt lgkmcnt(0)
	v_or_b32_e32 v4, s25, v6
	v_cmpx_ne_u64_e32 0, v[3:4]
	s_xor_b32 s1, exec_lo, s0
	s_cbranch_execz .LBB0_4
; %bb.3:                                ;   in Loop: Header=BB0_2 Depth=1
	v_cvt_f32_u32_e32 v4, s24
	v_cvt_f32_u32_e32 v7, s25
	s_sub_u32 s0, 0, s24
	s_subb_u32 s26, 0, s25
	v_fmac_f32_e32 v4, 0x4f800000, v7
	v_rcp_f32_e32 v4, v4
	v_mul_f32_e32 v4, 0x5f7ffffc, v4
	v_mul_f32_e32 v7, 0x2f800000, v4
	v_trunc_f32_e32 v7, v7
	v_fmac_f32_e32 v4, 0xcf800000, v7
	v_cvt_u32_f32_e32 v7, v7
	v_cvt_u32_f32_e32 v4, v4
	v_mul_lo_u32 v8, s0, v7
	v_mul_hi_u32 v9, s0, v4
	v_mul_lo_u32 v10, s26, v4
	v_add_nc_u32_e32 v8, v9, v8
	v_mul_lo_u32 v9, s0, v4
	v_add_nc_u32_e32 v8, v8, v10
	v_mul_hi_u32 v10, v4, v9
	v_mul_lo_u32 v11, v4, v8
	v_mul_hi_u32 v12, v4, v8
	v_mul_hi_u32 v13, v7, v9
	v_mul_lo_u32 v9, v7, v9
	v_mul_hi_u32 v14, v7, v8
	v_mul_lo_u32 v8, v7, v8
	v_add_co_u32 v10, vcc_lo, v10, v11
	v_add_co_ci_u32_e32 v11, vcc_lo, 0, v12, vcc_lo
	v_add_co_u32 v9, vcc_lo, v10, v9
	v_add_co_ci_u32_e32 v9, vcc_lo, v11, v13, vcc_lo
	v_add_co_ci_u32_e32 v10, vcc_lo, 0, v14, vcc_lo
	v_add_co_u32 v8, vcc_lo, v9, v8
	v_add_co_ci_u32_e32 v9, vcc_lo, 0, v10, vcc_lo
	v_add_co_u32 v4, vcc_lo, v4, v8
	v_add_co_ci_u32_e32 v7, vcc_lo, v7, v9, vcc_lo
	v_mul_hi_u32 v8, s0, v4
	v_mul_lo_u32 v10, s26, v4
	v_mul_lo_u32 v9, s0, v7
	v_add_nc_u32_e32 v8, v8, v9
	v_mul_lo_u32 v9, s0, v4
	v_add_nc_u32_e32 v8, v8, v10
	v_mul_hi_u32 v10, v4, v9
	v_mul_lo_u32 v11, v4, v8
	v_mul_hi_u32 v12, v4, v8
	v_mul_hi_u32 v13, v7, v9
	v_mul_lo_u32 v9, v7, v9
	v_mul_hi_u32 v14, v7, v8
	v_mul_lo_u32 v8, v7, v8
	v_add_co_u32 v10, vcc_lo, v10, v11
	v_add_co_ci_u32_e32 v11, vcc_lo, 0, v12, vcc_lo
	v_add_co_u32 v9, vcc_lo, v10, v9
	v_add_co_ci_u32_e32 v9, vcc_lo, v11, v13, vcc_lo
	v_add_co_ci_u32_e32 v10, vcc_lo, 0, v14, vcc_lo
	v_add_co_u32 v8, vcc_lo, v9, v8
	v_add_co_ci_u32_e32 v9, vcc_lo, 0, v10, vcc_lo
	v_add_co_u32 v4, vcc_lo, v4, v8
	v_add_co_ci_u32_e32 v11, vcc_lo, v7, v9, vcc_lo
	v_mul_hi_u32 v13, v5, v4
	v_mad_u64_u32 v[9:10], null, v6, v4, 0
	v_mad_u64_u32 v[7:8], null, v5, v11, 0
	;; [unrolled: 1-line block ×3, first 2 shown]
	v_add_co_u32 v4, vcc_lo, v13, v7
	v_add_co_ci_u32_e32 v7, vcc_lo, 0, v8, vcc_lo
	v_add_co_u32 v4, vcc_lo, v4, v9
	v_add_co_ci_u32_e32 v4, vcc_lo, v7, v10, vcc_lo
	v_add_co_ci_u32_e32 v7, vcc_lo, 0, v12, vcc_lo
	v_add_co_u32 v4, vcc_lo, v4, v11
	v_add_co_ci_u32_e32 v9, vcc_lo, 0, v7, vcc_lo
	v_mul_lo_u32 v10, s25, v4
	v_mad_u64_u32 v[7:8], null, s24, v4, 0
	v_mul_lo_u32 v11, s24, v9
	v_sub_co_u32 v7, vcc_lo, v5, v7
	v_add3_u32 v8, v8, v11, v10
	v_sub_nc_u32_e32 v10, v6, v8
	v_subrev_co_ci_u32_e64 v10, s0, s25, v10, vcc_lo
	v_add_co_u32 v11, s0, v4, 2
	v_add_co_ci_u32_e64 v12, s0, 0, v9, s0
	v_sub_co_u32 v13, s0, v7, s24
	v_sub_co_ci_u32_e32 v8, vcc_lo, v6, v8, vcc_lo
	v_subrev_co_ci_u32_e64 v10, s0, 0, v10, s0
	v_cmp_le_u32_e32 vcc_lo, s24, v13
	v_cmp_eq_u32_e64 s0, s25, v8
	v_cndmask_b32_e64 v13, 0, -1, vcc_lo
	v_cmp_le_u32_e32 vcc_lo, s25, v10
	v_cndmask_b32_e64 v14, 0, -1, vcc_lo
	v_cmp_le_u32_e32 vcc_lo, s24, v7
	;; [unrolled: 2-line block ×3, first 2 shown]
	v_cndmask_b32_e64 v15, 0, -1, vcc_lo
	v_cmp_eq_u32_e32 vcc_lo, s25, v10
	v_cndmask_b32_e64 v7, v15, v7, s0
	v_cndmask_b32_e32 v10, v14, v13, vcc_lo
	v_add_co_u32 v13, vcc_lo, v4, 1
	v_add_co_ci_u32_e32 v14, vcc_lo, 0, v9, vcc_lo
	v_cmp_ne_u32_e32 vcc_lo, 0, v10
	v_cndmask_b32_e32 v8, v14, v12, vcc_lo
	v_cndmask_b32_e32 v10, v13, v11, vcc_lo
	v_cmp_ne_u32_e32 vcc_lo, 0, v7
	v_cndmask_b32_e32 v39, v9, v8, vcc_lo
	v_cndmask_b32_e32 v38, v4, v10, vcc_lo
.LBB0_4:                                ;   in Loop: Header=BB0_2 Depth=1
	s_andn2_saveexec_b32 s0, s1
	s_cbranch_execz .LBB0_6
; %bb.5:                                ;   in Loop: Header=BB0_2 Depth=1
	v_cvt_f32_u32_e32 v4, s24
	s_sub_i32 s1, 0, s24
	v_mov_b32_e32 v39, v3
	v_rcp_iflag_f32_e32 v4, v4
	v_mul_f32_e32 v4, 0x4f7ffffe, v4
	v_cvt_u32_f32_e32 v4, v4
	v_mul_lo_u32 v7, s1, v4
	v_mul_hi_u32 v7, v4, v7
	v_add_nc_u32_e32 v4, v4, v7
	v_mul_hi_u32 v4, v5, v4
	v_mul_lo_u32 v7, v4, s24
	v_add_nc_u32_e32 v8, 1, v4
	v_sub_nc_u32_e32 v7, v5, v7
	v_subrev_nc_u32_e32 v9, s24, v7
	v_cmp_le_u32_e32 vcc_lo, s24, v7
	v_cndmask_b32_e32 v7, v7, v9, vcc_lo
	v_cndmask_b32_e32 v4, v4, v8, vcc_lo
	v_cmp_le_u32_e32 vcc_lo, s24, v7
	v_add_nc_u32_e32 v8, 1, v4
	v_cndmask_b32_e32 v38, v4, v8, vcc_lo
.LBB0_6:                                ;   in Loop: Header=BB0_2 Depth=1
	s_or_b32 exec_lo, exec_lo, s0
	v_mul_lo_u32 v4, v39, s24
	v_mul_lo_u32 v9, v38, s25
	s_load_dwordx2 s[0:1], s[6:7], 0x0
	v_mad_u64_u32 v[7:8], null, v38, s24, 0
	s_load_dwordx2 s[24:25], s[2:3], 0x0
	s_add_u32 s22, s22, 1
	s_addc_u32 s23, s23, 0
	s_add_u32 s2, s2, 8
	s_addc_u32 s3, s3, 0
	s_add_u32 s6, s6, 8
	v_add3_u32 v4, v8, v9, v4
	v_sub_co_u32 v5, vcc_lo, v5, v7
	s_addc_u32 s7, s7, 0
	s_add_u32 s20, s20, 8
	v_sub_co_ci_u32_e32 v4, vcc_lo, v6, v4, vcc_lo
	s_addc_u32 s21, s21, 0
	s_waitcnt lgkmcnt(0)
	v_mul_lo_u32 v6, s0, v4
	v_mul_lo_u32 v7, s1, v5
	v_mad_u64_u32 v[1:2], null, s0, v5, v[1:2]
	v_mul_lo_u32 v4, s24, v4
	v_mul_lo_u32 v8, s25, v5
	v_mad_u64_u32 v[32:33], null, s24, v5, v[32:33]
	v_cmp_ge_u64_e64 s0, s[22:23], s[14:15]
	v_add3_u32 v2, v7, v2, v6
	v_add3_u32 v33, v8, v33, v4
	s_and_b32 vcc_lo, exec_lo, s0
	s_cbranch_vccnz .LBB0_9
; %bb.7:                                ;   in Loop: Header=BB0_2 Depth=1
	v_mov_b32_e32 v5, v38
	v_mov_b32_e32 v6, v39
	s_branch .LBB0_2
.LBB0_8:
	v_mov_b32_e32 v33, v2
	v_mov_b32_e32 v39, v6
	;; [unrolled: 1-line block ×4, first 2 shown]
.LBB0_9:
	s_load_dwordx2 s[0:1], s[4:5], 0x28
	v_mul_hi_u32 v3, 0x4bda130, v0
	s_lshl_b64 s[4:5], s[14:15], 3
                                        ; implicit-def: $vgpr34
                                        ; implicit-def: $vgpr36
                                        ; implicit-def: $vgpr43
                                        ; implicit-def: $vgpr42
                                        ; implicit-def: $vgpr41
                                        ; implicit-def: $vgpr40
	s_add_u32 s2, s18, s4
	s_addc_u32 s3, s19, s5
	s_waitcnt lgkmcnt(0)
	v_cmp_gt_u64_e32 vcc_lo, s[0:1], v[38:39]
	v_cmp_le_u64_e64 s0, s[0:1], v[38:39]
	s_and_saveexec_b32 s1, s0
	s_xor_b32 s0, exec_lo, s1
; %bb.10:
	v_mul_u32_u24_e32 v1, 54, v3
                                        ; implicit-def: $vgpr3
	v_sub_nc_u32_e32 v34, v0, v1
                                        ; implicit-def: $vgpr0
                                        ; implicit-def: $vgpr1_vgpr2
	v_add_nc_u32_e32 v36, 54, v34
	v_add_nc_u32_e32 v43, 0x6c, v34
	;; [unrolled: 1-line block ×5, first 2 shown]
; %bb.11:
	s_andn2_saveexec_b32 s1, s0
	s_cbranch_execz .LBB0_13
; %bb.12:
	s_add_u32 s4, s16, s4
	s_addc_u32 s5, s17, s5
	v_lshlrev_b64 v[1:2], 3, v[1:2]
	s_load_dwordx2 s[4:5], s[4:5], 0x0
	s_waitcnt lgkmcnt(0)
	v_mul_lo_u32 v6, s5, v38
	v_mul_lo_u32 v7, s4, v39
	v_mad_u64_u32 v[4:5], null, s4, v38, 0
	v_add3_u32 v5, v5, v7, v6
	v_mul_u32_u24_e32 v6, 54, v3
	v_lshlrev_b64 v[3:4], 3, v[4:5]
	v_sub_nc_u32_e32 v34, v0, v6
	v_lshlrev_b32_e32 v35, 3, v34
	v_add_co_u32 v0, s0, s8, v3
	v_add_co_ci_u32_e64 v3, s0, s9, v4, s0
	v_add_nc_u32_e32 v36, 54, v34
	v_add_co_u32 v0, s0, v0, v1
	v_add_co_ci_u32_e64 v1, s0, v3, v2, s0
	v_add_nc_u32_e32 v43, 0x6c, v34
	v_add_co_u32 v0, s0, v0, v35
	v_add_co_ci_u32_e64 v1, s0, 0, v1, s0
	s_clause 0x3
	global_load_dwordx2 v[2:3], v[0:1], off
	global_load_dwordx2 v[4:5], v[0:1], off offset:432
	global_load_dwordx2 v[6:7], v[0:1], off offset:864
	;; [unrolled: 1-line block ×3, first 2 shown]
	v_add_co_u32 v10, s0, 0x800, v0
	v_add_co_ci_u32_e64 v11, s0, 0, v1, s0
	v_add_co_u32 v12, s0, 0x1000, v0
	v_add_co_ci_u32_e64 v13, s0, 0, v1, s0
	;; [unrolled: 2-line block ×3, first 2 shown]
	s_clause 0xb
	global_load_dwordx2 v[0:1], v[0:1], off offset:1728
	global_load_dwordx2 v[16:17], v[10:11], off offset:112
	;; [unrolled: 1-line block ×12, first 2 shown]
	v_add_nc_u32_e32 v35, 0, v35
	v_add_nc_u32_e32 v42, 0xa2, v34
	;; [unrolled: 1-line block ×8, first 2 shown]
	s_waitcnt vmcnt(14)
	ds_write2_b64 v35, v[2:3], v[4:5] offset1:54
	s_waitcnt vmcnt(12)
	ds_write2_b64 v35, v[6:7], v[8:9] offset0:108 offset1:162
	s_waitcnt vmcnt(10)
	ds_write2_b64 v37, v[0:1], v[16:17] offset0:88 offset1:142
	s_waitcnt vmcnt(8)
	ds_write2_b64 v44, v[18:19], v[20:21] offset0:68 offset1:122
	s_waitcnt vmcnt(6)
	ds_write2_b64 v44, v[22:23], v[10:11] offset0:176 offset1:230
	s_waitcnt vmcnt(4)
	ds_write2_b64 v45, v[24:25], v[26:27] offset0:28 offset1:82
	s_waitcnt vmcnt(2)
	ds_write2_b64 v45, v[28:29], v[30:31] offset0:136 offset1:190
	s_waitcnt vmcnt(0)
	ds_write2_b64 v46, v[12:13], v[14:15] offset0:116 offset1:170
.LBB0_13:
	s_or_b32 exec_lo, exec_lo, s1
	v_lshl_add_u32 v50, v34, 3, 0
	s_load_dwordx2 s[2:3], s[2:3], 0x0
	s_waitcnt lgkmcnt(0)
	s_barrier
	buffer_gl0_inv
	v_add_nc_u32_e32 v20, 0x800, v50
	v_add_nc_u32_e32 v28, 0x1000, v50
	;; [unrolled: 1-line block ×4, first 2 shown]
	ds_read2_b64 v[6:9], v50 offset1:54
	ds_read2_b64 v[10:13], v20 offset0:32 offset1:86
	ds_read2_b64 v[44:47], v28 offset0:64 offset1:118
	;; [unrolled: 1-line block ×4, first 2 shown]
	v_add_nc_u32_e32 v4, 0x1800, v50
	ds_read2_b64 v[59:62], v28 offset0:172 offset1:226
	ds_read2_b64 v[0:3], v16 offset0:88 offset1:142
	;; [unrolled: 1-line block ×4, first 2 shown]
	s_waitcnt lgkmcnt(0)
	s_barrier
	buffer_gl0_inv
	v_cmp_gt_u32_e64 s0, 18, v34
	v_add_f32_e32 v4, v6, v10
	v_add_f32_e32 v5, v10, v44
	;; [unrolled: 1-line block ×4, first 2 shown]
	v_sub_f32_e32 v23, v10, v44
	v_add_f32_e32 v17, v8, v12
	v_add_f32_e32 v18, v9, v13
	;; [unrolled: 1-line block ×7, first 2 shown]
	v_sub_f32_e32 v14, v11, v45
	v_add_f32_e32 v27, v12, v46
	v_sub_f32_e32 v31, v13, v47
	v_add_f32_e32 v13, v13, v47
	;; [unrolled: 2-line block ×3, first 2 shown]
	v_add_f32_e32 v17, v17, v46
	v_add_f32_e32 v18, v18, v47
	;; [unrolled: 1-line block ×4, first 2 shown]
	v_sub_f32_e32 v35, v56, v60
	v_add_f32_e32 v22, v22, v60
	v_add_f32_e32 v37, v56, v60
	v_sub_f32_e32 v55, v55, v59
	v_add_f32_e32 v25, v4, v61
	v_add_f32_e32 v48, v57, v61
	;; [unrolled: 3-line block ×7, first 2 shown]
	v_fma_f32 v29, -0.5, v5, v6
	v_fma_f32 v30, -0.5, v19, v7
	v_sub_f32_e32 v65, v65, v69
	v_add_f32_e32 v44, v4, v67
	v_add_f32_e32 v4, v46, v69
	;; [unrolled: 1-line block ×3, first 2 shown]
	v_fmamk_f32 v6, v14, 0x3f5db3d7, v29
	v_fmamk_f32 v7, v23, 0xbf5db3d7, v30
	v_lshl_add_u32 v19, v34, 4, v50
	v_fmac_f32_e32 v29, 0xbf5db3d7, v14
	v_fmac_f32_e32 v9, -0.5, v13
	v_fma_f32 v46, -0.5, v15, v51
	v_fma_f32 v47, -0.5, v37, v52
	;; [unrolled: 1-line block ×3, first 2 shown]
	v_fmac_f32_e32 v54, -0.5, v58
	v_fma_f32 v14, -0.5, v59, v0
	v_fma_f32 v15, -0.5, v61, v1
	;; [unrolled: 1-line block ×3, first 2 shown]
	v_fmac_f32_e32 v3, -0.5, v66
	v_fma_f32 v8, -0.5, v27, v8
	v_add_f32_e32 v45, v45, v68
	ds_write2_b64 v19, v[10:11], v[6:7] offset1:1
	v_fmac_f32_e32 v30, 0x3f5db3d7, v23
	v_fmamk_f32 v11, v12, 0xbf5db3d7, v9
	v_fmac_f32_e32 v9, 0x3f5db3d7, v12
	v_fmamk_f32 v48, v35, 0x3f5db3d7, v46
	;; [unrolled: 2-line block ×4, first 2 shown]
	v_fmamk_f32 v52, v57, 0xbf5db3d7, v54
	v_fmamk_f32 v12, v60, 0x3f5db3d7, v14
	v_fmac_f32_e32 v14, 0xbf5db3d7, v60
	v_fmamk_f32 v13, v62, 0xbf5db3d7, v15
	v_fmac_f32_e32 v15, 0x3f5db3d7, v62
	v_fmamk_f32 v6, v64, 0x3f5db3d7, v2
	v_fmac_f32_e32 v2, 0xbf5db3d7, v64
	v_mad_i32_i24 v35, v36, 24, 0
	v_fmamk_f32 v7, v65, 0xbf5db3d7, v3
	v_fmac_f32_e32 v3, 0x3f5db3d7, v65
	v_mad_i32_i24 v37, v43, 24, 0
	v_mad_i32_i24 v0, v42, 24, 0
	v_fmamk_f32 v10, v31, 0x3f5db3d7, v8
	v_fmac_f32_e32 v53, 0xbf5db3d7, v56
	v_fmac_f32_e32 v54, 0x3f5db3d7, v57
	;; [unrolled: 1-line block ×3, first 2 shown]
	v_mad_i32_i24 v1, v41, 24, 0
	ds_write_b64 v19, v[29:30] offset:16
	ds_write2_b64 v35, v[17:18], v[10:11] offset1:1
	ds_write_b64 v35, v[8:9] offset:16
	ds_write2_b64 v37, v[21:22], v[48:49] offset1:1
	;; [unrolled: 2-line block ×4, first 2 shown]
	ds_write_b64 v1, v[14:15] offset:16
	s_and_saveexec_b32 s1, s0
	s_cbranch_execz .LBB0_15
; %bb.14:
	v_mad_i32_i24 v0, v40, 24, 0
	ds_write2_b64 v0, v[4:5], v[6:7] offset1:1
	ds_write_b64 v0, v[2:3] offset:16
.LBB0_15:
	s_or_b32 exec_lo, exec_lo, s1
	v_lshlrev_b32_e32 v51, 4, v36
	s_waitcnt lgkmcnt(0)
	s_barrier
	buffer_gl0_inv
	ds_read2_b64 v[8:11], v50 offset1:144
	v_sub_nc_u32_e32 v0, v35, v51
	ds_read2_b64 v[16:19], v16 offset0:70 offset1:160
	ds_read2_b64 v[20:23], v20 offset0:86 offset1:176
	;; [unrolled: 1-line block ×4, first 2 shown]
	ds_read_b64 v[0:1], v0
	ds_read_b64 v[46:47], v50 offset:6192
	v_cmp_gt_u32_e64 s1, 36, v34
	s_and_saveexec_b32 s4, s1
	s_cbranch_execz .LBB0_17
; %bb.16:
	v_lshlrev_b32_e32 v2, 4, v43
	v_add_nc_u32_e32 v3, 0x600, v50
	v_add_nc_u32_e32 v4, 0x1000, v50
	v_sub_nc_u32_e32 v2, v37, v2
	ds_read2_b64 v[12:15], v3 offset0:60 offset1:204
	ds_read2_b64 v[4:7], v4 offset0:28 offset1:172
	ds_read_b64 v[44:45], v2
	ds_read_b64 v[2:3], v50 offset:6624
.LBB0_17:
	s_or_b32 exec_lo, exec_lo, s4
	v_and_b32_e32 v37, 0xff, v34
	v_and_b32_e32 v48, 0xff, v36
	v_mov_b32_e32 v56, 5
	v_mul_lo_u16 v49, 0xab, v37
	v_mul_lo_u16 v48, 0xab, v48
	v_lshrrev_b16 v70, 9, v49
	v_lshrrev_b16 v71, 9, v48
	v_and_b32_e32 v48, 0xff, v43
	v_mul_lo_u16 v49, v70, 3
	v_mul_lo_u16 v52, v71, 3
	;; [unrolled: 1-line block ×3, first 2 shown]
	v_sub_nc_u16 v72, v34, v49
	v_sub_nc_u16 v73, v36, v52
	v_lshrrev_b16 v48, 9, v48
	v_mul_u32_u24_sdwa v49, v72, v56 dst_sel:DWORD dst_unused:UNUSED_PAD src0_sel:BYTE_0 src1_sel:DWORD
	v_mul_u32_u24_sdwa v52, v73, v56 dst_sel:DWORD dst_unused:UNUSED_PAD src0_sel:BYTE_0 src1_sel:DWORD
	v_mul_lo_u16 v53, v48, 3
	v_lshlrev_b32_e32 v74, 3, v49
	v_lshlrev_b32_e32 v66, 3, v52
	v_sub_nc_u16 v49, v43, v53
	s_clause 0x1
	global_load_dwordx2 v[64:65], v74, s[12:13] offset:32
	global_load_dwordx4 v[52:55], v66, s[12:13] offset:16
	v_mul_u32_u24_sdwa v56, v49, v56 dst_sel:DWORD dst_unused:UNUSED_PAD src0_sel:BYTE_0 src1_sel:DWORD
	v_lshlrev_b32_e32 v75, 3, v56
	s_clause 0x2
	global_load_dwordx4 v[56:59], v75, s[12:13]
	global_load_dwordx4 v[60:63], v66, s[12:13]
	global_load_dwordx2 v[68:69], v66, s[12:13] offset:32
	s_waitcnt vmcnt(4) lgkmcnt(2)
	v_mul_f32_e32 v67, v65, v31
	v_mul_f32_e32 v76, v65, v30
	s_waitcnt vmcnt(3)
	v_mul_f32_e32 v65, v29, v55
	v_mul_f32_e32 v77, v28, v55
	v_fma_f32 v78, v64, v30, -v67
	v_fmac_f32_e32 v76, v64, v31
	v_mul_f32_e32 v30, v53, v25
	v_mul_f32_e32 v31, v53, v24
	v_fma_f32 v79, v28, v54, -v65
	v_fmac_f32_e32 v77, v29, v54
	v_fma_f32 v80, v52, v24, -v30
	v_fmac_f32_e32 v31, v52, v25
	global_load_dwordx4 v[52:55], v74, s[12:13] offset:16
	s_waitcnt vmcnt(3)
	v_mul_f32_e32 v24, v15, v59
	v_mul_f32_e32 v25, v14, v59
	;; [unrolled: 1-line block ×3, first 2 shown]
	global_load_dwordx4 v[64:67], v75, s[12:13] offset:16
	v_fma_f32 v24, v14, v58, -v24
	v_mul_f32_e32 v14, v13, v57
	v_fmac_f32_e32 v25, v15, v58
	v_fmac_f32_e32 v28, v13, v56
	v_mov_b32_e32 v13, 0x90
	v_fma_f32 v15, v12, v56, -v14
	s_clause 0x1
	global_load_dwordx4 v[56:59], v74, s[12:13]
	global_load_dwordx2 v[29:30], v75, s[12:13] offset:32
	v_mov_b32_e32 v14, 3
	v_mul_u32_u24_sdwa v12, v70, v13 dst_sel:DWORD dst_unused:UNUSED_PAD src0_sel:WORD_0 src1_sel:DWORD
	v_mul_u32_u24_sdwa v70, v71, v13 dst_sel:DWORD dst_unused:UNUSED_PAD src0_sel:WORD_0 src1_sel:DWORD
	s_waitcnt vmcnt(0) lgkmcnt(0)
	s_barrier
	v_lshlrev_b32_sdwa v71, v14, v72 dst_sel:DWORD dst_unused:UNUSED_PAD src0_sel:DWORD src1_sel:BYTE_0
	v_lshlrev_b32_sdwa v72, v14, v73 dst_sel:DWORD dst_unused:UNUSED_PAD src0_sel:DWORD src1_sel:BYTE_0
	buffer_gl0_inv
	v_add3_u32 v71, 0, v12, v71
	v_add3_u32 v70, 0, v70, v72
	v_sub_nc_u32_e32 v12, 0, v51
	v_mul_f32_e32 v72, v55, v27
	v_mul_f32_e32 v55, v55, v26
	;; [unrolled: 1-line block ×3, first 2 shown]
	v_fma_f32 v26, v54, v26, -v72
	v_fmac_f32_e32 v55, v54, v27
	v_mul_f32_e32 v27, v53, v23
	v_mul_f32_e32 v53, v63, v21
	;; [unrolled: 1-line block ×3, first 2 shown]
	v_fmac_f32_e32 v51, v52, v23
	v_mul_f32_e32 v23, v61, v17
	v_fma_f32 v22, v52, v22, -v27
	v_mul_f32_e32 v61, v61, v16
	v_mul_f32_e32 v27, v59, v19
	;; [unrolled: 1-line block ×3, first 2 shown]
	v_fma_f32 v20, v62, v20, -v53
	v_fmac_f32_e32 v54, v62, v21
	v_mul_f32_e32 v21, v57, v11
	v_mul_f32_e32 v53, v57, v10
	;; [unrolled: 1-line block ×3, first 2 shown]
	v_fma_f32 v23, v60, v16, -v23
	v_fmac_f32_e32 v61, v60, v17
	v_mul_f32_e32 v60, v5, v65
	v_mul_f32_e32 v17, v4, v65
	v_fma_f32 v27, v58, v18, -v27
	v_fmac_f32_e32 v52, v58, v19
	v_mul_f32_e32 v19, v3, v30
	v_mul_f32_e32 v18, v2, v30
	;; [unrolled: 1-line block ×5, first 2 shown]
	v_fma_f32 v21, v56, v10, -v21
	v_fmac_f32_e32 v53, v56, v11
	v_fmac_f32_e32 v59, v47, v68
	v_fma_f32 v10, v4, v64, -v60
	v_fmac_f32_e32 v17, v5, v64
	v_fma_f32 v2, v2, v29, -v19
	;; [unrolled: 2-line block ×3, first 2 shown]
	v_fma_f32 v4, v6, v66, -v62
	v_fmac_f32_e32 v16, v7, v66
	v_sub_f32_e32 v6, v52, v55
	v_add_f32_e32 v7, v9, v52
	v_add_f32_e32 v19, v52, v55
	;; [unrolled: 1-line block ×3, first 2 shown]
	v_sub_f32_e32 v46, v51, v76
	v_add_f32_e32 v47, v53, v51
	v_add_f32_e32 v51, v51, v76
	v_add_f32_e32 v52, v0, v20
	v_add_f32_e32 v56, v20, v79
	v_sub_f32_e32 v57, v54, v77
	v_add_f32_e32 v58, v1, v54
	v_add_f32_e32 v54, v54, v77
	v_sub_f32_e32 v63, v31, v59
	v_add_f32_e32 v64, v61, v31
	v_add_f32_e32 v31, v31, v59
	;; [unrolled: 1-line block ×8, first 2 shown]
	v_sub_f32_e32 v22, v22, v78
	v_add_f32_e32 v60, v23, v80
	v_sub_f32_e32 v65, v80, v11
	v_sub_f32_e32 v73, v17, v18
	v_sub_f32_e32 v75, v10, v2
	v_fma_f32 v19, -0.5, v19, v9
	v_add_f32_e32 v7, v7, v55
	v_fmac_f32_e32 v21, -0.5, v30
	v_add_f32_e32 v9, v47, v76
	v_fmac_f32_e32 v53, -0.5, v51
	v_add_f32_e32 v51, v52, v79
	v_fma_f32 v76, -0.5, v56, v0
	v_add_f32_e32 v52, v58, v77
	v_fmac_f32_e32 v1, -0.5, v54
	v_add_f32_e32 v54, v64, v59
	v_fmac_f32_e32 v61, -0.5, v31
	v_fma_f32 v31, -0.5, v72, v15
	v_fma_f32 v55, -0.5, v74, v28
	v_add_f32_e32 v66, v24, v4
	v_sub_f32_e32 v20, v20, v79
	v_fmac_f32_e32 v23, -0.5, v62
	v_add_f32_e32 v68, v25, v16
	v_sub_f32_e32 v27, v27, v26
	v_fma_f32 v80, -0.5, v5, v8
	v_add_f32_e32 v5, v3, v26
	v_add_f32_e32 v8, v29, v78
	;; [unrolled: 1-line block ×3, first 2 shown]
	v_fmamk_f32 v56, v46, 0x3f5db3d7, v21
	v_fmamk_f32 v59, v22, 0xbf5db3d7, v53
	v_fmac_f32_e32 v53, 0x3f5db3d7, v22
	v_fmamk_f32 v22, v57, 0x3f5db3d7, v76
	v_fmac_f32_e32 v76, 0xbf5db3d7, v57
	v_fmamk_f32 v57, v65, 0xbf5db3d7, v61
	v_add_f32_e32 v47, v52, v54
	v_sub_f32_e32 v52, v52, v54
	v_fmamk_f32 v54, v73, 0x3f5db3d7, v31
	v_fmac_f32_e32 v31, 0xbf5db3d7, v73
	v_fmamk_f32 v62, v75, 0xbf5db3d7, v55
	v_fmac_f32_e32 v55, 0x3f5db3d7, v75
	v_sub_f32_e32 v67, v25, v16
	v_fma_f32 v0, -0.5, v66, v44
	v_fmac_f32_e32 v21, 0xbf5db3d7, v46
	v_fmamk_f32 v66, v20, 0xbf5db3d7, v1
	v_fmac_f32_e32 v1, 0x3f5db3d7, v20
	v_fmamk_f32 v20, v63, 0x3f5db3d7, v23
	v_sub_f32_e32 v69, v24, v4
	v_fma_f32 v3, -0.5, v68, v45
	v_fmac_f32_e32 v23, 0xbf5db3d7, v63
	v_fmac_f32_e32 v61, 0x3f5db3d7, v65
	v_fmamk_f32 v60, v27, 0xbf5db3d7, v19
	v_fmac_f32_e32 v19, 0x3f5db3d7, v27
	v_add_f32_e32 v26, v5, v8
	v_add_f32_e32 v27, v7, v9
	v_sub_f32_e32 v29, v5, v8
	v_sub_f32_e32 v30, v7, v9
	v_add_f32_e32 v46, v51, v11
	v_sub_f32_e32 v51, v51, v11
	v_mul_f32_e32 v63, 0x3f5db3d7, v59
	v_mul_f32_e32 v65, 0xbf5db3d7, v56
	;; [unrolled: 1-line block ×4, first 2 shown]
	v_mul_f32_e32 v7, -0.5, v31
	v_mul_f32_e32 v9, 0xbf5db3d7, v54
	v_mul_f32_e32 v11, -0.5, v55
	v_fmamk_f32 v5, v67, 0x3f5db3d7, v0
	v_fmac_f32_e32 v0, 0xbf5db3d7, v67
	v_mul_f32_e32 v64, -0.5, v21
	v_mul_f32_e32 v67, -0.5, v53
	v_mul_f32_e32 v72, 0xbf5db3d7, v20
	v_fmamk_f32 v58, v6, 0x3f5db3d7, v80
	v_fmac_f32_e32 v80, 0xbf5db3d7, v6
	v_fmamk_f32 v6, v69, 0xbf5db3d7, v3
	v_fmac_f32_e32 v3, 0x3f5db3d7, v69
	v_mul_f32_e32 v69, -0.5, v23
	v_mul_f32_e32 v73, -0.5, v61
	v_fmac_f32_e32 v63, 0.5, v56
	v_fmac_f32_e32 v65, 0.5, v59
	;; [unrolled: 1-line block ×4, first 2 shown]
	v_fmac_f32_e32 v7, 0x3f5db3d7, v55
	v_fmac_f32_e32 v9, 0.5, v62
	v_fmac_f32_e32 v11, 0xbf5db3d7, v31
	v_fmac_f32_e32 v64, 0x3f5db3d7, v53
	;; [unrolled: 1-line block ×3, first 2 shown]
	v_fmac_f32_e32 v72, 0.5, v57
	v_fmac_f32_e32 v69, 0x3f5db3d7, v61
	v_fmac_f32_e32 v73, 0xbf5db3d7, v23
	v_add_f32_e32 v53, v58, v63
	v_add_f32_e32 v54, v60, v65
	v_sub_f32_e32 v57, v58, v63
	v_sub_f32_e32 v58, v60, v65
	v_add_f32_e32 v61, v22, v68
	v_sub_f32_e32 v65, v22, v68
	v_sub_f32_e32 v20, v5, v8
	;; [unrolled: 1-line block ×5, first 2 shown]
	v_add_f32_e32 v55, v80, v64
	v_add_f32_e32 v56, v19, v67
	v_sub_f32_e32 v59, v80, v64
	v_sub_f32_e32 v60, v19, v67
	v_add_f32_e32 v62, v66, v72
	v_add_f32_e32 v63, v76, v69
	;; [unrolled: 1-line block ×3, first 2 shown]
	v_sub_f32_e32 v67, v76, v69
	v_sub_f32_e32 v66, v66, v72
	v_sub_f32_e32 v68, v1, v73
	ds_write2_b64 v71, v[26:27], v[53:54] offset1:3
	ds_write2_b64 v71, v[55:56], v[29:30] offset0:6 offset1:9
	ds_write2_b64 v71, v[57:58], v[59:60] offset0:12 offset1:15
	ds_write2_b64 v70, v[46:47], v[61:62] offset1:3
	ds_write2_b64 v70, v[63:64], v[51:52] offset0:6 offset1:9
	ds_write2_b64 v70, v[65:66], v[67:68] offset0:12 offset1:15
	s_and_saveexec_b32 s4, s1
	s_cbranch_execz .LBB0_19
; %bb.18:
	v_add_f32_e32 v1, v45, v25
	v_add_f32_e32 v17, v28, v17
	;; [unrolled: 1-line block ×10, first 2 shown]
	v_mul_u32_u24_sdwa v11, v48, v13 dst_sel:DWORD dst_unused:UNUSED_PAD src0_sel:WORD_0 src1_sel:DWORD
	v_lshlrev_b32_sdwa v13, v14, v49 dst_sel:DWORD dst_unused:UNUSED_PAD src0_sel:DWORD src1_sel:BYTE_0
	v_add_f32_e32 v9, v15, v16
	v_sub_f32_e32 v2, v4, v10
	v_add_f32_e32 v5, v5, v8
	v_add_f32_e32 v8, v4, v10
	v_add3_u32 v4, 0, v11, v13
	v_sub_f32_e32 v3, v15, v16
	v_add_f32_e32 v0, v0, v7
	ds_write2_b64 v4, v[8:9], v[5:6] offset1:3
	ds_write2_b64 v4, v[0:1], v[2:3] offset0:6 offset1:9
	ds_write2_b64 v4, v[20:21], v[22:23] offset0:12 offset1:15
.LBB0_19:
	s_or_b32 exec_lo, exec_lo, s4
	v_mul_lo_u16 v0, v37, 57
	v_mov_b32_e32 v1, 15
	s_waitcnt lgkmcnt(0)
	s_barrier
	buffer_gl0_inv
	v_lshrrev_b16 v19, 10, v0
	v_add_nc_u32_e32 v52, v35, v12
	v_lshl_add_u32 v51, v43, 3, 0
	v_lshl_add_u32 v55, v42, 3, 0
	;; [unrolled: 1-line block ×3, first 2 shown]
	v_mul_lo_u16 v0, v19, 18
	v_lshl_add_u32 v53, v40, 3, 0
	v_add_nc_u32_e32 v35, 0x800, v50
	v_mov_b32_e32 v12, 0x120
	v_add_nc_u32_e32 v86, 0x1000, v50
	v_sub_nc_u16 v37, v34, v0
	v_add_nc_u32_e32 v87, 0x1400, v50
	v_add_nc_u32_e32 v88, 0xc00, v50
	v_mul_u32_u24_sdwa v12, v19, v12 dst_sel:DWORD dst_unused:UNUSED_PAD src0_sel:WORD_0 src1_sel:DWORD
	v_mul_u32_u24_sdwa v0, v37, v1 dst_sel:DWORD dst_unused:UNUSED_PAD src0_sel:BYTE_0 src1_sel:DWORD
	v_or_b32_sdwa v12, v12, v37 dst_sel:DWORD dst_unused:UNUSED_PAD src0_sel:DWORD src1_sel:BYTE_0
	v_lshlrev_b32_e32 v17, 3, v0
	s_clause 0x7
	global_load_dwordx4 v[0:3], v17, s[12:13] offset:120
	global_load_dwordx4 v[4:7], v17, s[12:13] offset:136
	global_load_dwordx4 v[8:11], v17, s[12:13] offset:152
	global_load_dwordx4 v[13:16], v17, s[12:13] offset:168
	global_load_dwordx4 v[24:27], v17, s[12:13] offset:184
	global_load_dwordx4 v[28:31], v17, s[12:13] offset:200
	global_load_dwordx4 v[44:47], v17, s[12:13] offset:216
	global_load_dwordx2 v[17:18], v17, s[12:13] offset:232
	ds_read_b64 v[48:49], v52
	ds_read_b64 v[78:79], v55
	;; [unrolled: 1-line block ×5, first 2 shown]
	ds_read2_b64 v[56:59], v35 offset0:68 offset1:122
	ds_read2_b64 v[60:63], v35 offset0:176 offset1:230
	;; [unrolled: 1-line block ×5, first 2 shown]
	v_lshl_add_u32 v37, v12, 3, 0
	ds_read_b64 v[84:85], v50
	s_waitcnt vmcnt(0) lgkmcnt(0)
	s_barrier
	buffer_gl0_inv
	v_add_nc_u32_e32 v89, 0x400, v37
	v_mul_f32_e32 v12, v1, v49
	v_mul_f32_e32 v1, v1, v48
	;; [unrolled: 1-line block ×8, first 2 shown]
	v_fma_f32 v12, v0, v48, -v12
	v_fmac_f32_e32 v1, v0, v49
	v_mul_f32_e32 v0, v83, v9
	v_mul_f32_e32 v9, v82, v9
	v_fma_f32 v19, v2, v76, -v19
	v_fmac_f32_e32 v3, v2, v77
	v_mul_f32_e32 v2, v57, v11
	v_mul_f32_e32 v11, v56, v11
	;; [unrolled: 1-line block ×6, first 2 shown]
	v_fma_f32 v76, v4, v78, -v90
	v_fmac_f32_e32 v5, v4, v79
	v_mul_f32_e32 v4, v63, v25
	v_mul_f32_e32 v25, v62, v25
	v_fma_f32 v77, v6, v80, -v91
	v_fmac_f32_e32 v7, v6, v81
	v_mul_f32_e32 v6, v65, v27
	v_mul_f32_e32 v27, v64, v27
	;; [unrolled: 1-line block ×6, first 2 shown]
	v_fma_f32 v0, v82, v8, -v0
	v_fmac_f32_e32 v9, v83, v8
	v_mul_f32_e32 v8, v71, v45
	v_mul_f32_e32 v45, v70, v45
	v_fma_f32 v2, v56, v10, -v2
	v_fmac_f32_e32 v11, v57, v10
	v_mul_f32_e32 v10, v73, v47
	v_mul_f32_e32 v47, v72, v47
	;; [unrolled: 1-line block ×4, first 2 shown]
	v_fma_f32 v48, v58, v13, -v48
	v_fmac_f32_e32 v14, v59, v13
	v_fma_f32 v13, v60, v15, -v49
	v_fmac_f32_e32 v16, v61, v15
	;; [unrolled: 2-line block ×9, first 2 shown]
	v_sub_f32_e32 v13, v84, v13
	v_sub_f32_e32 v16, v85, v16
	;; [unrolled: 1-line block ×16, first 2 shown]
	v_fma_f32 v31, v84, 2.0, -v13
	v_fma_f32 v44, v85, 2.0, -v16
	;; [unrolled: 1-line block ×16, first 2 shown]
	v_sub_f32_e32 v24, v13, v24
	v_add_f32_e32 v17, v16, v17
	v_sub_f32_e32 v28, v6, v28
	v_add_f32_e32 v10, v27, v10
	;; [unrolled: 2-line block ×4, first 2 shown]
	v_sub_f32_e32 v45, v31, v45
	v_sub_f32_e32 v7, v44, v7
	v_fma_f32 v13, v13, 2.0, -v24
	v_fma_f32 v16, v16, 2.0, -v17
	v_sub_f32_e32 v2, v19, v2
	v_sub_f32_e32 v11, v3, v11
	v_fma_f32 v6, v6, 2.0, -v28
	v_fma_f32 v27, v27, 2.0, -v10
	;; [unrolled: 4-line block ×4, first 2 shown]
	v_fmamk_f32 v49, v10, 0x3f3504f3, v17
	v_fmamk_f32 v47, v28, 0x3f3504f3, v24
	;; [unrolled: 1-line block ×4, first 2 shown]
	v_fma_f32 v31, v31, 2.0, -v45
	v_fma_f32 v44, v44, 2.0, -v7
	;; [unrolled: 1-line block ×8, first 2 shown]
	v_fmamk_f32 v46, v6, 0xbf3504f3, v13
	v_fmamk_f32 v59, v27, 0xbf3504f3, v16
	v_add_f32_e32 v61, v7, v2
	v_fmac_f32_e32 v49, 0x3f3504f3, v28
	v_fmamk_f32 v28, v15, 0xbf3504f3, v4
	v_fmamk_f32 v62, v29, 0xbf3504f3, v48
	v_sub_f32_e32 v60, v45, v11
	v_fmac_f32_e32 v47, 0xbf3504f3, v10
	v_sub_f32_e32 v10, v0, v14
	v_add_f32_e32 v11, v9, v25
	v_fmac_f32_e32 v56, 0xbf3504f3, v26
	v_fmac_f32_e32 v57, 0x3f3504f3, v18
	v_sub_f32_e32 v14, v31, v19
	v_sub_f32_e32 v18, v44, v3
	v_fmac_f32_e32 v46, 0xbf3504f3, v27
	v_fmac_f32_e32 v59, 0x3f3504f3, v6
	v_fma_f32 v27, v7, 2.0, -v61
	v_sub_f32_e32 v7, v12, v1
	v_sub_f32_e32 v6, v58, v5
	v_fmac_f32_e32 v28, 0xbf3504f3, v29
	v_fmac_f32_e32 v62, 0x3f3504f3, v15
	v_fma_f32 v26, v45, 2.0, -v60
	v_fma_f32 v45, v24, 2.0, -v47
	;; [unrolled: 1-line block ×7, first 2 shown]
	v_fmamk_f32 v0, v10, 0x3f3504f3, v60
	v_fmamk_f32 v1, v11, 0x3f3504f3, v61
	v_fmamk_f32 v24, v56, 0x3f6c835e, v47
	v_fmamk_f32 v25, v57, 0x3f6c835e, v49
	v_fma_f32 v30, v31, 2.0, -v14
	v_fma_f32 v31, v44, 2.0, -v18
	;; [unrolled: 1-line block ×8, first 2 shown]
	v_fmamk_f32 v2, v15, 0xbf3504f3, v26
	v_fmamk_f32 v3, v17, 0xbf3504f3, v27
	;; [unrolled: 1-line block ×6, first 2 shown]
	v_add_f32_e32 v7, v18, v7
	v_fmac_f32_e32 v0, 0xbf3504f3, v11
	v_fmac_f32_e32 v1, 0x3f3504f3, v10
	;; [unrolled: 1-line block ×4, first 2 shown]
	v_sub_f32_e32 v10, v30, v12
	v_sub_f32_e32 v11, v31, v13
	v_fmamk_f32 v12, v58, 0xbf6c835e, v44
	v_fmamk_f32 v13, v48, 0xbf6c835e, v64
	v_fmac_f32_e32 v2, 0xbf3504f3, v17
	v_fmac_f32_e32 v3, 0x3f3504f3, v15
	;; [unrolled: 1-line block ×4, first 2 shown]
	v_sub_f32_e32 v6, v14, v6
	v_fmac_f32_e32 v8, 0xbf6c835e, v62
	v_fmac_f32_e32 v9, 0x3f6c835e, v28
	v_fma_f32 v15, v18, 2.0, -v7
	v_fma_f32 v16, v60, 2.0, -v0
	;; [unrolled: 1-line block ×5, first 2 shown]
	v_fmac_f32_e32 v12, 0xbec3ef15, v48
	v_fmac_f32_e32 v13, 0x3ec3ef15, v58
	v_fma_f32 v26, v26, 2.0, -v2
	v_fma_f32 v27, v27, 2.0, -v3
	;; [unrolled: 1-line block ×5, first 2 shown]
	ds_write2_b64 v89, v[0:1], v[24:25] offset0:124 offset1:142
	v_fma_f32 v0, v30, 2.0, -v10
	v_fma_f32 v1, v31, 2.0, -v11
	;; [unrolled: 1-line block ×4, first 2 shown]
	ds_write2_b64 v37, v[16:17], v[18:19] offset0:108 offset1:126
	ds_write2_b64 v37, v[2:3], v[4:5] offset0:180 offset1:198
	v_fma_f32 v2, v44, 2.0, -v12
	v_fma_f32 v3, v64, 2.0, -v13
	ds_write2_b64 v37, v[6:7], v[8:9] offset0:216 offset1:234
	ds_write2_b64 v37, v[26:27], v[28:29] offset0:36 offset1:54
	;; [unrolled: 1-line block ×4, first 2 shown]
	ds_write2_b64 v37, v[0:1], v[2:3] offset1:18
	s_waitcnt lgkmcnt(0)
	s_barrier
	buffer_gl0_inv
	ds_read2_b64 v[16:19], v35 offset0:32 offset1:86
	ds_read2_b64 v[0:3], v88 offset0:120 offset1:192
	ds_read_b64 v[44:45], v52
	ds_read2_b64 v[12:15], v86 offset0:118 offset1:172
	ds_read2_b64 v[8:11], v35 offset0:140 offset1:194
	;; [unrolled: 1-line block ×3, first 2 shown]
	ds_read_b64 v[48:49], v50
	ds_read_b64 v[30:31], v51
	;; [unrolled: 1-line block ×4, first 2 shown]
	s_and_saveexec_b32 s1, s0
	s_cbranch_execz .LBB0_21
; %bb.20:
	ds_read_b64 v[20:21], v50 offset:4464
	ds_read_b64 v[24:25], v53
	ds_read_b64 v[22:23], v50 offset:6768
.LBB0_21:
	s_or_b32 exec_lo, exec_lo, s1
	v_lshlrev_b32_e32 v46, 1, v34
	v_mov_b32_e32 v47, 0
	v_lshlrev_b64 v[56:57], 3, v[46:47]
	v_lshlrev_b32_e32 v46, 1, v36
	v_lshlrev_b64 v[58:59], 3, v[46:47]
	v_add_co_u32 v35, s1, s12, v56
	v_add_co_ci_u32_e64 v37, s1, s13, v57, s1
	v_lshlrev_b32_e32 v46, 1, v43
	v_add_co_u32 v56, s1, 0x800, v35
	v_add_co_ci_u32_e64 v57, s1, 0, v37, s1
	v_add_co_u32 v35, s1, s12, v58
	v_lshlrev_b64 v[60:61], 3, v[46:47]
	v_add_co_ci_u32_e64 v37, s1, s13, v59, s1
	v_lshlrev_b32_e32 v46, 1, v42
	v_add_co_u32 v62, s1, 0x800, v35
	v_add_co_ci_u32_e64 v63, s1, 0, v37, s1
	v_add_co_u32 v35, s1, s12, v60
	v_add_co_ci_u32_e64 v37, s1, s13, v61, s1
	v_lshlrev_b64 v[68:69], 3, v[46:47]
	v_add_co_u32 v64, s1, 0x800, v35
	v_lshlrev_b32_e32 v46, 1, v41
	v_add_co_ci_u32_e64 v65, s1, 0, v37, s1
	s_clause 0x1
	global_load_dwordx4 v[56:59], v[56:57], off offset:232
	global_load_dwordx4 v[60:63], v[62:63], off offset:232
	v_add_co_u32 v35, s1, s12, v68
	v_add_co_ci_u32_e64 v37, s1, s13, v69, s1
	v_lshlrev_b64 v[72:73], 3, v[46:47]
	v_add_co_u32 v68, s1, 0x800, v35
	v_add_co_ci_u32_e64 v69, s1, 0, v37, s1
	global_load_dwordx4 v[64:67], v[64:65], off offset:232
	v_add_co_u32 v35, s1, s12, v72
	global_load_dwordx4 v[68:71], v[68:69], off offset:232
	v_add_co_ci_u32_e64 v37, s1, s13, v73, s1
	v_add_co_u32 v72, s1, 0x800, v35
	v_add_co_ci_u32_e64 v73, s1, 0, v37, s1
	global_load_dwordx4 v[72:75], v[72:73], off offset:232
	s_waitcnt vmcnt(0) lgkmcnt(0)
	s_barrier
	buffer_gl0_inv
	v_mul_f32_e32 v35, v57, v17
	v_mul_f32_e32 v37, v57, v16
	;; [unrolled: 1-line block ×4, first 2 shown]
	v_fma_f32 v16, v56, v16, -v35
	v_fmac_f32_e32 v37, v56, v17
	v_mul_f32_e32 v17, v61, v19
	v_mul_f32_e32 v35, v61, v18
	v_fmac_f32_e32 v57, v58, v3
	v_mul_f32_e32 v56, v63, v12
	v_fma_f32 v2, v58, v2, -v46
	v_mul_f32_e32 v46, v63, v13
	v_fma_f32 v17, v60, v18, -v17
	v_fmac_f32_e32 v35, v60, v19
	v_mul_f32_e32 v3, v65, v9
	v_mul_f32_e32 v18, v67, v15
	;; [unrolled: 1-line block ×3, first 2 shown]
	v_sub_f32_e32 v59, v37, v57
	v_add_f32_e32 v60, v49, v37
	v_add_f32_e32 v37, v37, v57
	v_fmac_f32_e32 v56, v62, v13
	v_mul_f32_e32 v13, v65, v8
	v_add_f32_e32 v58, v16, v2
	v_fma_f32 v12, v62, v12, -v46
	v_add_f32_e32 v46, v48, v16
	v_fma_f32 v61, v64, v8, -v3
	v_fma_f32 v14, v66, v14, -v18
	v_fmac_f32_e32 v19, v66, v15
	v_mul_f32_e32 v8, v69, v11
	v_mul_f32_e32 v15, v69, v10
	;; [unrolled: 1-line block ×3, first 2 shown]
	v_fmac_f32_e32 v49, -0.5, v37
	v_add_f32_e32 v37, v44, v17
	v_fmac_f32_e32 v13, v64, v9
	v_mul_f32_e32 v9, v5, v71
	v_fma_f32 v48, -0.5, v58, v48
	v_add_f32_e32 v3, v60, v57
	v_sub_f32_e32 v57, v35, v56
	v_add_f32_e32 v58, v45, v35
	v_add_f32_e32 v35, v35, v56
	v_sub_f32_e32 v16, v16, v2
	v_add_f32_e32 v2, v46, v2
	v_add_f32_e32 v46, v17, v12
	v_sub_f32_e32 v17, v17, v12
	v_fma_f32 v10, v68, v10, -v8
	v_fmac_f32_e32 v15, v68, v11
	v_fmac_f32_e32 v18, v5, v70
	v_mul_f32_e32 v60, v1, v73
	v_mul_f32_e32 v62, v0, v73
	v_mul_f32_e32 v63, v7, v75
	v_mul_f32_e32 v64, v6, v75
	v_add_f32_e32 v8, v37, v12
	v_add_f32_e32 v12, v30, v61
	v_fma_f32 v11, v4, v70, -v9
	v_fmac_f32_e32 v45, -0.5, v35
	v_sub_f32_e32 v35, v13, v19
	v_add_f32_e32 v37, v31, v13
	v_add_f32_e32 v13, v13, v19
	v_fmamk_f32 v4, v59, 0x3f5db3d7, v48
	v_fmamk_f32 v5, v16, 0xbf5db3d7, v49
	v_fmac_f32_e32 v49, 0x3f5db3d7, v16
	v_fma_f32 v44, -0.5, v46, v44
	v_add_f32_e32 v9, v58, v56
	v_add_f32_e32 v16, v61, v14
	v_sub_f32_e32 v46, v61, v14
	ds_write_b64 v50, v[2:3]
	v_fma_f32 v56, v0, v72, -v60
	v_fmac_f32_e32 v62, v1, v72
	v_fma_f32 v58, v6, v74, -v63
	v_fmac_f32_e32 v64, v7, v74
	v_add_f32_e32 v2, v12, v14
	v_add_f32_e32 v14, v15, v18
	v_fmac_f32_e32 v48, 0xbf5db3d7, v59
	v_add_f32_e32 v7, v10, v11
	v_fmac_f32_e32 v31, -0.5, v13
	v_add_f32_e32 v13, v29, v15
	v_fma_f32 v30, -0.5, v16, v30
	v_add_f32_e32 v6, v28, v10
	ds_write_b64 v50, v[4:5] offset:2304
	ds_write_b64 v50, v[48:49] offset:4608
	ds_write_b64 v52, v[8:9]
	v_fmac_f32_e32 v29, -0.5, v14
	v_add_f32_e32 v9, v56, v58
	v_add_f32_e32 v14, v62, v64
	v_fmamk_f32 v0, v57, 0x3f5db3d7, v44
	v_fmamk_f32 v1, v17, 0xbf5db3d7, v45
	v_sub_f32_e32 v12, v15, v18
	v_sub_f32_e32 v10, v10, v11
	v_fma_f32 v28, -0.5, v7, v28
	v_fmac_f32_e32 v44, 0xbf5db3d7, v57
	v_fmac_f32_e32 v45, 0x3f5db3d7, v17
	v_add_f32_e32 v3, v37, v19
	v_add_f32_e32 v7, v13, v18
	;; [unrolled: 1-line block ×4, first 2 shown]
	v_fmamk_f32 v4, v35, 0x3f5db3d7, v30
	v_fmamk_f32 v5, v46, 0xbf5db3d7, v31
	v_add_f32_e32 v6, v6, v11
	v_sub_f32_e32 v11, v62, v64
	v_sub_f32_e32 v15, v56, v58
	v_fma_f32 v26, -0.5, v9, v26
	v_fmac_f32_e32 v27, -0.5, v14
	v_fmac_f32_e32 v30, 0xbf5db3d7, v35
	v_fmac_f32_e32 v31, 0x3f5db3d7, v46
	ds_write_b64 v52, v[0:1] offset:2304
	ds_write_b64 v52, v[44:45] offset:4608
	ds_write_b64 v51, v[2:3]
	v_fmamk_f32 v0, v12, 0x3f5db3d7, v28
	v_fmamk_f32 v1, v10, 0xbf5db3d7, v29
	v_fmac_f32_e32 v28, 0xbf5db3d7, v12
	v_fmac_f32_e32 v29, 0x3f5db3d7, v10
	v_add_f32_e32 v2, v8, v58
	v_add_f32_e32 v3, v13, v64
	ds_write_b64 v51, v[4:5] offset:2304
	ds_write_b64 v51, v[30:31] offset:4608
	ds_write_b64 v55, v[6:7]
	v_fmamk_f32 v4, v11, 0x3f5db3d7, v26
	v_fmamk_f32 v5, v15, 0xbf5db3d7, v27
	v_fmac_f32_e32 v26, 0xbf5db3d7, v11
	v_fmac_f32_e32 v27, 0x3f5db3d7, v15
	ds_write_b64 v55, v[0:1] offset:2304
	ds_write_b64 v55, v[28:29] offset:4608
	ds_write_b64 v54, v[2:3]
	ds_write_b64 v54, v[4:5] offset:2304
	ds_write_b64 v54, v[26:27] offset:4608
	s_and_saveexec_b32 s1, s0
	s_cbranch_execz .LBB0_23
; %bb.22:
	v_subrev_nc_u32_e32 v0, 18, v34
	v_cndmask_b32_e64 v0, v0, v40, s0
	v_lshlrev_b32_e32 v46, 1, v0
	v_lshlrev_b64 v[0:1], 3, v[46:47]
	v_add_co_u32 v0, s0, s12, v0
	v_add_co_ci_u32_e64 v1, s0, s13, v1, s0
	v_add_co_u32 v0, s0, 0x800, v0
	v_add_co_ci_u32_e64 v1, s0, 0, v1, s0
	global_load_dwordx4 v[0:3], v[0:1], off offset:232
	s_waitcnt vmcnt(0)
	v_mul_f32_e32 v4, v21, v1
	v_mul_f32_e32 v5, v20, v1
	;; [unrolled: 1-line block ×4, first 2 shown]
	v_fma_f32 v3, v20, v0, -v4
	v_fmac_f32_e32 v5, v21, v0
	v_fmac_f32_e32 v6, v23, v2
	v_fma_f32 v2, v22, v2, -v1
	v_add_f32_e32 v9, v24, v3
	v_add_f32_e32 v8, v25, v5
	;; [unrolled: 1-line block ×4, first 2 shown]
	v_sub_f32_e32 v4, v3, v2
	v_sub_f32_e32 v10, v5, v6
	v_add_f32_e32 v3, v8, v6
	v_fma_f32 v1, -0.5, v0, v25
	v_fma_f32 v0, -0.5, v7, v24
	v_add_f32_e32 v2, v9, v2
	v_fmamk_f32 v5, v4, 0x3f5db3d7, v1
	v_fmac_f32_e32 v1, 0xbf5db3d7, v4
	v_fmamk_f32 v4, v10, 0xbf5db3d7, v0
	v_fmac_f32_e32 v0, 0x3f5db3d7, v10
	ds_write_b64 v50, v[2:3] offset:2160
	ds_write_b64 v50, v[0:1] offset:4464
	;; [unrolled: 1-line block ×3, first 2 shown]
.LBB0_23:
	s_or_b32 exec_lo, exec_lo, s1
	s_waitcnt lgkmcnt(0)
	s_barrier
	buffer_gl0_inv
	ds_read_b64 v[2:3], v50
	v_lshlrev_b32_e32 v0, 3, v34
	s_add_u32 s1, s12, 0x1ae8
	s_addc_u32 s4, s13, 0
	s_mov_b32 s5, exec_lo
                                        ; implicit-def: $vgpr5
                                        ; implicit-def: $vgpr6
	v_sub_nc_u32_e32 v4, 0, v0
                                        ; implicit-def: $vgpr0
	v_cmpx_ne_u32_e32 0, v34
	s_xor_b32 s5, exec_lo, s5
	s_cbranch_execz .LBB0_25
; %bb.24:
	v_mov_b32_e32 v35, 0
	v_lshlrev_b64 v[0:1], 3, v[34:35]
	v_add_co_u32 v0, s0, s1, v0
	v_add_co_ci_u32_e64 v1, s0, s4, v1, s0
	global_load_dwordx2 v[7:8], v[0:1], off
	ds_read_b64 v[0:1], v4 offset:6912
	s_waitcnt lgkmcnt(0)
	v_sub_f32_e32 v5, v2, v0
	v_add_f32_e32 v6, v1, v3
	v_sub_f32_e32 v1, v3, v1
	v_add_f32_e32 v0, v0, v2
	v_mul_f32_e32 v3, 0.5, v5
	v_mul_f32_e32 v2, 0.5, v6
	;; [unrolled: 1-line block ×3, first 2 shown]
	s_waitcnt vmcnt(0)
	v_mul_f32_e32 v6, v8, v3
	v_fma_f32 v9, v2, v8, v1
	v_fma_f32 v1, v2, v8, -v1
	v_fma_f32 v5, 0.5, v0, v6
	v_fma_f32 v0, v0, 0.5, -v6
	v_fma_f32 v6, -v7, v3, v9
	v_fma_f32 v1, -v7, v3, v1
	v_fmac_f32_e32 v5, v7, v2
	v_fma_f32 v0, -v7, v2, v0
                                        ; implicit-def: $vgpr2_vgpr3
.LBB0_25:
	s_andn2_saveexec_b32 s0, s5
	s_cbranch_execz .LBB0_27
; %bb.26:
	v_mov_b32_e32 v6, 0
	s_waitcnt lgkmcnt(0)
	v_add_f32_e32 v5, v2, v3
	v_sub_f32_e32 v0, v2, v3
	ds_read_b32 v1, v6 offset:3460
	s_waitcnt lgkmcnt(0)
	v_xor_b32_e32 v2, 0x80000000, v1
	v_mov_b32_e32 v1, 0
	ds_write_b32 v6, v2 offset:3460
.LBB0_27:
	s_or_b32 exec_lo, exec_lo, s0
	v_mov_b32_e32 v37, 0
	s_waitcnt lgkmcnt(0)
	v_lshlrev_b64 v[2:3], 3, v[36:37]
	v_mov_b32_e32 v44, v37
	v_add_nc_u32_e32 v36, 0x144, v34
	v_lshlrev_b64 v[7:8], 3, v[43:44]
	v_add_co_u32 v2, s0, s1, v2
	v_add_co_ci_u32_e64 v3, s0, s4, v3, s0
	v_mov_b32_e32 v43, v37
	v_add_co_u32 v7, s0, s1, v7
	global_load_dwordx2 v[2:3], v[2:3], off
	v_add_co_ci_u32_e64 v8, s0, s4, v8, s0
	v_lshlrev_b64 v[9:10], 3, v[42:43]
	v_mov_b32_e32 v42, v37
	v_lshlrev_b64 v[15:16], 3, v[36:37]
	global_load_dwordx2 v[7:8], v[7:8], off
	v_add_nc_u32_e32 v36, 0x17a, v34
	v_add_co_u32 v9, s0, s1, v9
	v_add_co_ci_u32_e64 v10, s0, s4, v10, s0
	v_lshlrev_b64 v[11:12], 3, v[41:42]
	v_mov_b32_e32 v41, v37
	v_lshlrev_b64 v[17:18], 3, v[36:37]
	global_load_dwordx2 v[9:10], v[9:10], off
	v_add_co_u32 v11, s0, s1, v11
	v_add_co_ci_u32_e64 v12, s0, s4, v12, s0
	v_lshlrev_b64 v[13:14], 3, v[40:41]
	global_load_dwordx2 v[11:12], v[11:12], off
	v_add_co_u32 v13, s0, s1, v13
	v_add_co_ci_u32_e64 v14, s0, s4, v14, s0
	v_add_co_u32 v15, s0, s1, v15
	v_add_co_ci_u32_e64 v16, s0, s4, v16, s0
	global_load_dwordx2 v[13:14], v[13:14], off
	v_add_co_u32 v17, s0, s1, v17
	global_load_dwordx2 v[15:16], v[15:16], off
	v_add_co_ci_u32_e64 v18, s0, s4, v18, s0
	ds_write2_b32 v50, v5, v6 offset1:1
	ds_write_b64 v4, v[0:1] offset:6912
	global_load_dwordx2 v[0:1], v[17:18], off
	ds_read_b64 v[5:6], v52
	ds_read_b64 v[17:18], v4 offset:6480
	s_waitcnt lgkmcnt(0)
	v_sub_f32_e32 v19, v5, v17
	v_add_f32_e32 v20, v6, v18
	v_sub_f32_e32 v6, v6, v18
	v_add_f32_e32 v5, v5, v17
	v_mul_f32_e32 v18, 0.5, v19
	v_mul_f32_e32 v19, 0.5, v20
	;; [unrolled: 1-line block ×3, first 2 shown]
	s_waitcnt vmcnt(6)
	v_mul_f32_e32 v17, v3, v18
	v_fma_f32 v20, v19, v3, v6
	v_fma_f32 v3, v19, v3, -v6
	v_fma_f32 v6, 0.5, v5, v17
	v_fma_f32 v5, v5, 0.5, -v17
	v_fma_f32 v17, -v2, v18, v20
	v_fma_f32 v3, -v2, v18, v3
	v_fmac_f32_e32 v6, v2, v19
	v_fma_f32 v2, -v2, v19, v5
	ds_write_b32 v52, v17 offset:4
	ds_write_b32 v4, v3 offset:6484
	ds_write_b32 v52, v6
	ds_write_b32 v4, v2 offset:6480
	ds_read_b64 v[2:3], v51
	ds_read_b64 v[5:6], v4 offset:6048
	s_waitcnt lgkmcnt(0)
	v_sub_f32_e32 v17, v2, v5
	v_add_f32_e32 v18, v3, v6
	v_sub_f32_e32 v3, v3, v6
	v_add_f32_e32 v2, v2, v5
	v_mul_f32_e32 v6, 0.5, v17
	v_mul_f32_e32 v17, 0.5, v18
	;; [unrolled: 1-line block ×3, first 2 shown]
	s_waitcnt vmcnt(5)
	v_mul_f32_e32 v5, v8, v6
	v_fma_f32 v18, v17, v8, v3
	v_fma_f32 v3, v17, v8, -v3
	v_fma_f32 v8, 0.5, v2, v5
	v_fma_f32 v2, v2, 0.5, -v5
	v_fma_f32 v5, -v7, v6, v18
	v_fma_f32 v3, -v7, v6, v3
	v_fmac_f32_e32 v8, v7, v17
	v_fma_f32 v2, -v7, v17, v2
	ds_write2_b32 v51, v8, v5 offset1:1
	ds_write_b64 v4, v[2:3] offset:6048
	ds_read_b64 v[2:3], v55
	ds_read_b64 v[5:6], v4 offset:5616
	s_waitcnt lgkmcnt(0)
	v_sub_f32_e32 v7, v2, v5
	v_add_f32_e32 v8, v3, v6
	v_sub_f32_e32 v3, v3, v6
	v_add_f32_e32 v2, v2, v5
	v_mul_f32_e32 v6, 0.5, v7
	v_mul_f32_e32 v7, 0.5, v8
	;; [unrolled: 1-line block ×3, first 2 shown]
	s_waitcnt vmcnt(4)
	v_mul_f32_e32 v5, v10, v6
	v_fma_f32 v8, v7, v10, v3
	v_fma_f32 v3, v7, v10, -v3
	v_fma_f32 v10, 0.5, v2, v5
	v_fma_f32 v2, v2, 0.5, -v5
	v_fma_f32 v5, -v9, v6, v8
	v_fma_f32 v3, -v9, v6, v3
	v_fmac_f32_e32 v10, v9, v7
	v_fma_f32 v2, -v9, v7, v2
	ds_write2_b32 v55, v10, v5 offset1:1
	ds_write_b64 v4, v[2:3] offset:5616
	ds_read_b64 v[2:3], v54
	ds_read_b64 v[5:6], v4 offset:5184
	v_add_nc_u32_e32 v10, 0x800, v50
	s_waitcnt lgkmcnt(0)
	v_sub_f32_e32 v7, v2, v5
	v_add_f32_e32 v8, v3, v6
	v_sub_f32_e32 v3, v3, v6
	v_add_f32_e32 v2, v2, v5
	v_mul_f32_e32 v6, 0.5, v7
	v_mul_f32_e32 v7, 0.5, v8
	;; [unrolled: 1-line block ×3, first 2 shown]
	s_waitcnt vmcnt(3)
	v_mul_f32_e32 v5, v12, v6
	v_fma_f32 v8, v7, v12, v3
	v_fma_f32 v3, v7, v12, -v3
	v_fma_f32 v9, 0.5, v2, v5
	v_fma_f32 v2, v2, 0.5, -v5
	v_fma_f32 v5, -v11, v6, v8
	v_fma_f32 v3, -v11, v6, v3
	v_fmac_f32_e32 v9, v11, v7
	v_fma_f32 v2, -v11, v7, v2
	ds_write2_b32 v54, v9, v5 offset1:1
	ds_write_b64 v4, v[2:3] offset:5184
	ds_read_b64 v[2:3], v53
	ds_read_b64 v[5:6], v4 offset:4752
	s_waitcnt lgkmcnt(0)
	v_sub_f32_e32 v7, v2, v5
	v_add_f32_e32 v8, v3, v6
	v_sub_f32_e32 v3, v3, v6
	v_add_f32_e32 v2, v2, v5
	v_mul_f32_e32 v6, 0.5, v7
	v_mul_f32_e32 v7, 0.5, v8
	;; [unrolled: 1-line block ×3, first 2 shown]
	s_waitcnt vmcnt(2)
	v_mul_f32_e32 v5, v14, v6
	v_fma_f32 v8, v7, v14, v3
	v_fma_f32 v3, v7, v14, -v3
	v_fma_f32 v9, 0.5, v2, v5
	v_fma_f32 v2, v2, 0.5, -v5
	v_fma_f32 v5, -v13, v6, v8
	v_fma_f32 v3, -v13, v6, v3
	v_fmac_f32_e32 v9, v13, v7
	v_fma_f32 v2, -v13, v7, v2
	ds_write2_b32 v53, v9, v5 offset1:1
	ds_write_b64 v4, v[2:3] offset:4752
	ds_read_b64 v[2:3], v50 offset:2592
	ds_read_b64 v[5:6], v4 offset:4320
	s_waitcnt lgkmcnt(0)
	v_sub_f32_e32 v7, v2, v5
	v_add_f32_e32 v8, v3, v6
	v_sub_f32_e32 v3, v3, v6
	v_add_f32_e32 v2, v2, v5
	v_mul_f32_e32 v6, 0.5, v7
	v_mul_f32_e32 v7, 0.5, v8
	;; [unrolled: 1-line block ×3, first 2 shown]
	s_waitcnt vmcnt(1)
	v_mul_f32_e32 v5, v16, v6
	v_fma_f32 v8, v7, v16, v3
	v_fma_f32 v3, v7, v16, -v3
	v_fma_f32 v9, 0.5, v2, v5
	v_fma_f32 v2, v2, 0.5, -v5
	v_fma_f32 v5, -v15, v6, v8
	v_fma_f32 v3, -v15, v6, v3
	v_fmac_f32_e32 v9, v15, v7
	v_fma_f32 v2, -v15, v7, v2
	ds_write2_b32 v10, v9, v5 offset0:136 offset1:137
	ds_write_b64 v4, v[2:3] offset:4320
	ds_read_b64 v[2:3], v50 offset:3024
	ds_read_b64 v[5:6], v4 offset:3888
	s_waitcnt lgkmcnt(0)
	v_sub_f32_e32 v7, v2, v5
	v_add_f32_e32 v8, v3, v6
	v_sub_f32_e32 v3, v3, v6
	v_add_f32_e32 v2, v2, v5
	v_mul_f32_e32 v6, 0.5, v7
	v_mul_f32_e32 v7, 0.5, v8
	;; [unrolled: 1-line block ×3, first 2 shown]
	s_waitcnt vmcnt(0)
	v_mul_f32_e32 v5, v1, v6
	v_fma_f32 v8, v7, v1, v3
	v_fma_f32 v1, v7, v1, -v3
	v_fma_f32 v3, 0.5, v2, v5
	v_fma_f32 v2, v2, 0.5, -v5
	v_fma_f32 v5, -v0, v6, v8
	v_fma_f32 v1, -v0, v6, v1
	v_fmac_f32_e32 v3, v0, v7
	v_fma_f32 v0, -v0, v7, v2
	ds_write2_b32 v10, v3, v5 offset0:244 offset1:245
	ds_write_b64 v4, v[0:1] offset:3888
	s_waitcnt lgkmcnt(0)
	s_barrier
	buffer_gl0_inv
	s_and_saveexec_b32 s0, vcc_lo
	s_cbranch_execz .LBB0_30
; %bb.28:
	v_mul_lo_u32 v2, s3, v38
	v_mul_lo_u32 v3, s2, v39
	v_mad_u64_u32 v[0:1], null, s2, v38, 0
	v_lshl_add_u32 v24, v34, 3, 0
	v_mov_b32_e32 v35, v37
	v_lshlrev_b64 v[10:11], 3, v[32:33]
	v_add_nc_u32_e32 v36, 54, v34
	ds_read2_b64 v[6:9], v24 offset0:108 offset1:162
	v_add3_u32 v1, v1, v3, v2
	ds_read2_b64 v[2:5], v24 offset1:54
	v_lshlrev_b64 v[12:13], 3, v[34:35]
	v_lshlrev_b64 v[14:15], 3, v[36:37]
	v_add_nc_u32_e32 v36, 0x6c, v34
	v_lshlrev_b64 v[0:1], 3, v[0:1]
	v_add_nc_u32_e32 v18, 0x400, v24
	v_add_nc_u32_e32 v25, 0x1000, v24
	v_add_co_u32 v0, vcc_lo, s10, v0
	v_add_co_ci_u32_e32 v1, vcc_lo, s11, v1, vcc_lo
	v_add_co_u32 v0, vcc_lo, v0, v10
	v_add_co_ci_u32_e32 v1, vcc_lo, v1, v11, vcc_lo
	v_lshlrev_b64 v[10:11], 3, v[36:37]
	v_add_co_u32 v12, vcc_lo, v0, v12
	v_add_co_ci_u32_e32 v13, vcc_lo, v1, v13, vcc_lo
	v_add_co_u32 v14, vcc_lo, v0, v14
	v_add_co_ci_u32_e32 v15, vcc_lo, v1, v15, vcc_lo
	v_add_nc_u32_e32 v36, 0xa2, v34
	v_add_co_u32 v10, vcc_lo, v0, v10
	v_add_co_ci_u32_e32 v11, vcc_lo, v1, v11, vcc_lo
	v_lshlrev_b64 v[16:17], 3, v[36:37]
	v_add_nc_u32_e32 v36, 0xd8, v34
	s_waitcnt lgkmcnt(0)
	global_store_dwordx2 v[12:13], v[2:3], off
	global_store_dwordx2 v[14:15], v[4:5], off
	;; [unrolled: 1-line block ×3, first 2 shown]
	ds_read2_b64 v[2:5], v18 offset0:88 offset1:142
	v_lshlrev_b64 v[6:7], 3, v[36:37]
	v_add_nc_u32_e32 v36, 0x10e, v34
	v_add_co_u32 v10, vcc_lo, v0, v16
	v_add_co_ci_u32_e32 v11, vcc_lo, v1, v17, vcc_lo
	v_lshlrev_b64 v[12:13], 3, v[36:37]
	v_add_nc_u32_e32 v36, 0x144, v34
	v_add_co_u32 v6, vcc_lo, v0, v6
	v_add_co_ci_u32_e32 v7, vcc_lo, v1, v7, vcc_lo
	v_add_co_u32 v12, vcc_lo, v0, v12
	v_lshlrev_b64 v[14:15], 3, v[36:37]
	v_add_nc_u32_e32 v36, 0x17a, v34
	v_add_co_ci_u32_e32 v13, vcc_lo, v1, v13, vcc_lo
	v_add_nc_u32_e32 v16, 0x800, v24
	global_store_dwordx2 v[10:11], v[8:9], off
	s_waitcnt lgkmcnt(0)
	global_store_dwordx2 v[6:7], v[2:3], off
	global_store_dwordx2 v[12:13], v[4:5], off
	v_lshlrev_b64 v[10:11], 3, v[36:37]
	v_add_nc_u32_e32 v36, 0x1b0, v34
	v_add_co_u32 v14, vcc_lo, v0, v14
	ds_read2_b64 v[2:5], v16 offset0:68 offset1:122
	ds_read2_b64 v[6:9], v16 offset0:176 offset1:230
	v_lshlrev_b64 v[12:13], 3, v[36:37]
	v_add_co_ci_u32_e32 v15, vcc_lo, v1, v15, vcc_lo
	v_add_nc_u32_e32 v36, 0x1e6, v34
	v_add_co_u32 v16, vcc_lo, v0, v10
	v_add_co_ci_u32_e32 v17, vcc_lo, v1, v11, vcc_lo
	v_add_co_u32 v20, vcc_lo, v0, v12
	v_lshlrev_b64 v[18:19], 3, v[36:37]
	v_add_co_ci_u32_e32 v21, vcc_lo, v1, v13, vcc_lo
	v_add_nc_u32_e32 v36, 0x21c, v34
	ds_read2_b64 v[10:13], v25 offset0:28 offset1:82
	v_add_co_u32 v18, vcc_lo, v0, v18
	v_lshlrev_b64 v[22:23], 3, v[36:37]
	v_add_nc_u32_e32 v36, 0x252, v34
	v_add_co_ci_u32_e32 v19, vcc_lo, v1, v19, vcc_lo
	s_waitcnt lgkmcnt(2)
	global_store_dwordx2 v[14:15], v[2:3], off
	global_store_dwordx2 v[16:17], v[4:5], off
	s_waitcnt lgkmcnt(1)
	global_store_dwordx2 v[20:21], v[6:7], off
	global_store_dwordx2 v[18:19], v[8:9], off
	v_add_nc_u32_e32 v6, 0x1400, v24
	v_lshlrev_b64 v[2:3], 3, v[36:37]
	v_add_nc_u32_e32 v36, 0x288, v34
	v_add_co_u32 v4, vcc_lo, v0, v22
	v_add_co_ci_u32_e32 v5, vcc_lo, v1, v23, vcc_lo
	v_lshlrev_b64 v[14:15], 3, v[36:37]
	v_add_nc_u32_e32 v36, 0x2be, v34
	v_add_co_u32 v2, vcc_lo, v0, v2
	v_add_co_ci_u32_e32 v3, vcc_lo, v1, v3, vcc_lo
	s_waitcnt lgkmcnt(0)
	global_store_dwordx2 v[4:5], v[10:11], off
	v_lshlrev_b64 v[10:11], 3, v[36:37]
	v_add_nc_u32_e32 v36, 0x2f4, v34
	global_store_dwordx2 v[2:3], v[12:13], off
	v_add_co_u32 v12, vcc_lo, v0, v14
	ds_read2_b64 v[2:5], v25 offset0:136 offset1:190
	v_add_co_ci_u32_e32 v13, vcc_lo, v1, v15, vcc_lo
	v_lshlrev_b64 v[14:15], 3, v[36:37]
	v_add_nc_u32_e32 v36, 0x32a, v34
	ds_read2_b64 v[6:9], v6 offset0:116 offset1:170
	v_add_co_u32 v10, vcc_lo, v0, v10
	v_add_co_ci_u32_e32 v11, vcc_lo, v1, v11, vcc_lo
	v_lshlrev_b64 v[16:17], 3, v[36:37]
	v_add_co_u32 v14, vcc_lo, v0, v14
	v_add_co_ci_u32_e32 v15, vcc_lo, v1, v15, vcc_lo
	v_add_co_u32 v16, vcc_lo, v0, v16
	v_add_co_ci_u32_e32 v17, vcc_lo, v1, v17, vcc_lo
	v_cmp_eq_u32_e32 vcc_lo, 53, v34
	s_waitcnt lgkmcnt(1)
	global_store_dwordx2 v[12:13], v[2:3], off
	global_store_dwordx2 v[10:11], v[4:5], off
	s_waitcnt lgkmcnt(0)
	global_store_dwordx2 v[14:15], v[6:7], off
	global_store_dwordx2 v[16:17], v[8:9], off
	s_and_b32 exec_lo, exec_lo, vcc_lo
	s_cbranch_execz .LBB0_30
; %bb.29:
	v_mov_b32_e32 v2, 0
	v_add_co_u32 v0, vcc_lo, 0x1800, v0
	v_add_co_ci_u32_e32 v1, vcc_lo, 0, v1, vcc_lo
	ds_read_b64 v[2:3], v2 offset:6912
	s_waitcnt lgkmcnt(0)
	global_store_dwordx2 v[0:1], v[2:3], off offset:768
.LBB0_30:
	s_endpgm
	.section	.rodata,"a",@progbits
	.p2align	6, 0x0
	.amdhsa_kernel fft_rtc_fwd_len864_factors_3_6_16_3_wgs_54_tpt_54_halfLds_sp_op_CI_CI_unitstride_sbrr_R2C_dirReg
		.amdhsa_group_segment_fixed_size 0
		.amdhsa_private_segment_fixed_size 0
		.amdhsa_kernarg_size 104
		.amdhsa_user_sgpr_count 6
		.amdhsa_user_sgpr_private_segment_buffer 1
		.amdhsa_user_sgpr_dispatch_ptr 0
		.amdhsa_user_sgpr_queue_ptr 0
		.amdhsa_user_sgpr_kernarg_segment_ptr 1
		.amdhsa_user_sgpr_dispatch_id 0
		.amdhsa_user_sgpr_flat_scratch_init 0
		.amdhsa_user_sgpr_private_segment_size 0
		.amdhsa_wavefront_size32 1
		.amdhsa_uses_dynamic_stack 0
		.amdhsa_system_sgpr_private_segment_wavefront_offset 0
		.amdhsa_system_sgpr_workgroup_id_x 1
		.amdhsa_system_sgpr_workgroup_id_y 0
		.amdhsa_system_sgpr_workgroup_id_z 0
		.amdhsa_system_sgpr_workgroup_info 0
		.amdhsa_system_vgpr_workitem_id 0
		.amdhsa_next_free_vgpr 92
		.amdhsa_next_free_sgpr 27
		.amdhsa_reserve_vcc 1
		.amdhsa_reserve_flat_scratch 0
		.amdhsa_float_round_mode_32 0
		.amdhsa_float_round_mode_16_64 0
		.amdhsa_float_denorm_mode_32 3
		.amdhsa_float_denorm_mode_16_64 3
		.amdhsa_dx10_clamp 1
		.amdhsa_ieee_mode 1
		.amdhsa_fp16_overflow 0
		.amdhsa_workgroup_processor_mode 1
		.amdhsa_memory_ordered 1
		.amdhsa_forward_progress 0
		.amdhsa_shared_vgpr_count 0
		.amdhsa_exception_fp_ieee_invalid_op 0
		.amdhsa_exception_fp_denorm_src 0
		.amdhsa_exception_fp_ieee_div_zero 0
		.amdhsa_exception_fp_ieee_overflow 0
		.amdhsa_exception_fp_ieee_underflow 0
		.amdhsa_exception_fp_ieee_inexact 0
		.amdhsa_exception_int_div_zero 0
	.end_amdhsa_kernel
	.text
.Lfunc_end0:
	.size	fft_rtc_fwd_len864_factors_3_6_16_3_wgs_54_tpt_54_halfLds_sp_op_CI_CI_unitstride_sbrr_R2C_dirReg, .Lfunc_end0-fft_rtc_fwd_len864_factors_3_6_16_3_wgs_54_tpt_54_halfLds_sp_op_CI_CI_unitstride_sbrr_R2C_dirReg
                                        ; -- End function
	.section	.AMDGPU.csdata,"",@progbits
; Kernel info:
; codeLenInByte = 9592
; NumSgprs: 29
; NumVgprs: 92
; ScratchSize: 0
; MemoryBound: 0
; FloatMode: 240
; IeeeMode: 1
; LDSByteSize: 0 bytes/workgroup (compile time only)
; SGPRBlocks: 3
; VGPRBlocks: 11
; NumSGPRsForWavesPerEU: 29
; NumVGPRsForWavesPerEU: 92
; Occupancy: 10
; WaveLimiterHint : 1
; COMPUTE_PGM_RSRC2:SCRATCH_EN: 0
; COMPUTE_PGM_RSRC2:USER_SGPR: 6
; COMPUTE_PGM_RSRC2:TRAP_HANDLER: 0
; COMPUTE_PGM_RSRC2:TGID_X_EN: 1
; COMPUTE_PGM_RSRC2:TGID_Y_EN: 0
; COMPUTE_PGM_RSRC2:TGID_Z_EN: 0
; COMPUTE_PGM_RSRC2:TIDIG_COMP_CNT: 0
	.text
	.p2alignl 6, 3214868480
	.fill 48, 4, 3214868480
	.type	__hip_cuid_24b3100ec4e23a9b,@object ; @__hip_cuid_24b3100ec4e23a9b
	.section	.bss,"aw",@nobits
	.globl	__hip_cuid_24b3100ec4e23a9b
__hip_cuid_24b3100ec4e23a9b:
	.byte	0                               ; 0x0
	.size	__hip_cuid_24b3100ec4e23a9b, 1

	.ident	"AMD clang version 19.0.0git (https://github.com/RadeonOpenCompute/llvm-project roc-6.4.0 25133 c7fe45cf4b819c5991fe208aaa96edf142730f1d)"
	.section	".note.GNU-stack","",@progbits
	.addrsig
	.addrsig_sym __hip_cuid_24b3100ec4e23a9b
	.amdgpu_metadata
---
amdhsa.kernels:
  - .args:
      - .actual_access:  read_only
        .address_space:  global
        .offset:         0
        .size:           8
        .value_kind:     global_buffer
      - .offset:         8
        .size:           8
        .value_kind:     by_value
      - .actual_access:  read_only
        .address_space:  global
        .offset:         16
        .size:           8
        .value_kind:     global_buffer
      - .actual_access:  read_only
        .address_space:  global
        .offset:         24
        .size:           8
        .value_kind:     global_buffer
      - .actual_access:  read_only
        .address_space:  global
        .offset:         32
        .size:           8
        .value_kind:     global_buffer
      - .offset:         40
        .size:           8
        .value_kind:     by_value
      - .actual_access:  read_only
        .address_space:  global
        .offset:         48
        .size:           8
        .value_kind:     global_buffer
      - .actual_access:  read_only
        .address_space:  global
        .offset:         56
        .size:           8
        .value_kind:     global_buffer
      - .offset:         64
        .size:           4
        .value_kind:     by_value
      - .actual_access:  read_only
        .address_space:  global
        .offset:         72
        .size:           8
        .value_kind:     global_buffer
      - .actual_access:  read_only
        .address_space:  global
        .offset:         80
        .size:           8
        .value_kind:     global_buffer
      - .actual_access:  read_only
        .address_space:  global
        .offset:         88
        .size:           8
        .value_kind:     global_buffer
      - .actual_access:  write_only
        .address_space:  global
        .offset:         96
        .size:           8
        .value_kind:     global_buffer
    .group_segment_fixed_size: 0
    .kernarg_segment_align: 8
    .kernarg_segment_size: 104
    .language:       OpenCL C
    .language_version:
      - 2
      - 0
    .max_flat_workgroup_size: 54
    .name:           fft_rtc_fwd_len864_factors_3_6_16_3_wgs_54_tpt_54_halfLds_sp_op_CI_CI_unitstride_sbrr_R2C_dirReg
    .private_segment_fixed_size: 0
    .sgpr_count:     29
    .sgpr_spill_count: 0
    .symbol:         fft_rtc_fwd_len864_factors_3_6_16_3_wgs_54_tpt_54_halfLds_sp_op_CI_CI_unitstride_sbrr_R2C_dirReg.kd
    .uniform_work_group_size: 1
    .uses_dynamic_stack: false
    .vgpr_count:     92
    .vgpr_spill_count: 0
    .wavefront_size: 32
    .workgroup_processor_mode: 1
amdhsa.target:   amdgcn-amd-amdhsa--gfx1030
amdhsa.version:
  - 1
  - 2
...

	.end_amdgpu_metadata
